;; amdgpu-corpus repo=ROCm/rocFFT kind=compiled arch=gfx1030 opt=O3
	.text
	.amdgcn_target "amdgcn-amd-amdhsa--gfx1030"
	.amdhsa_code_object_version 6
	.protected	fft_rtc_back_len350_factors_5_7_10_wgs_50_tpt_50_half_ip_CI_unitstride_sbrr_C2R_dirReg ; -- Begin function fft_rtc_back_len350_factors_5_7_10_wgs_50_tpt_50_half_ip_CI_unitstride_sbrr_C2R_dirReg
	.globl	fft_rtc_back_len350_factors_5_7_10_wgs_50_tpt_50_half_ip_CI_unitstride_sbrr_C2R_dirReg
	.p2align	8
	.type	fft_rtc_back_len350_factors_5_7_10_wgs_50_tpt_50_half_ip_CI_unitstride_sbrr_C2R_dirReg,@function
fft_rtc_back_len350_factors_5_7_10_wgs_50_tpt_50_half_ip_CI_unitstride_sbrr_C2R_dirReg: ; @fft_rtc_back_len350_factors_5_7_10_wgs_50_tpt_50_half_ip_CI_unitstride_sbrr_C2R_dirReg
; %bb.0:
	s_clause 0x2
	s_load_dwordx4 s[8:11], s[4:5], 0x0
	s_load_dwordx2 s[2:3], s[4:5], 0x50
	s_load_dwordx2 s[12:13], s[4:5], 0x18
	v_mul_u32_u24_e32 v1, 0x51f, v0
	v_mov_b32_e32 v3, 0
	v_add_nc_u32_sdwa v5, s6, v1 dst_sel:DWORD dst_unused:UNUSED_PAD src0_sel:DWORD src1_sel:WORD_1
	v_mov_b32_e32 v1, 0
	v_mov_b32_e32 v6, v3
	v_mov_b32_e32 v2, 0
	s_waitcnt lgkmcnt(0)
	v_cmp_lt_u64_e64 s0, s[10:11], 2
	s_and_b32 vcc_lo, exec_lo, s0
	s_cbranch_vccnz .LBB0_8
; %bb.1:
	s_load_dwordx2 s[0:1], s[4:5], 0x10
	v_mov_b32_e32 v1, 0
	s_add_u32 s6, s12, 8
	v_mov_b32_e32 v2, 0
	s_addc_u32 s7, s13, 0
	s_mov_b64 s[16:17], 1
	s_waitcnt lgkmcnt(0)
	s_add_u32 s14, s0, 8
	s_addc_u32 s15, s1, 0
.LBB0_2:                                ; =>This Inner Loop Header: Depth=1
	s_load_dwordx2 s[18:19], s[14:15], 0x0
                                        ; implicit-def: $vgpr7_vgpr8
	s_mov_b32 s0, exec_lo
	s_waitcnt lgkmcnt(0)
	v_or_b32_e32 v4, s19, v6
	v_cmpx_ne_u64_e32 0, v[3:4]
	s_xor_b32 s1, exec_lo, s0
	s_cbranch_execz .LBB0_4
; %bb.3:                                ;   in Loop: Header=BB0_2 Depth=1
	v_cvt_f32_u32_e32 v4, s18
	v_cvt_f32_u32_e32 v7, s19
	s_sub_u32 s0, 0, s18
	s_subb_u32 s20, 0, s19
	v_fmac_f32_e32 v4, 0x4f800000, v7
	v_rcp_f32_e32 v4, v4
	v_mul_f32_e32 v4, 0x5f7ffffc, v4
	v_mul_f32_e32 v7, 0x2f800000, v4
	v_trunc_f32_e32 v7, v7
	v_fmac_f32_e32 v4, 0xcf800000, v7
	v_cvt_u32_f32_e32 v7, v7
	v_cvt_u32_f32_e32 v4, v4
	v_mul_lo_u32 v8, s0, v7
	v_mul_hi_u32 v9, s0, v4
	v_mul_lo_u32 v10, s20, v4
	v_add_nc_u32_e32 v8, v9, v8
	v_mul_lo_u32 v9, s0, v4
	v_add_nc_u32_e32 v8, v8, v10
	v_mul_hi_u32 v10, v4, v9
	v_mul_lo_u32 v11, v4, v8
	v_mul_hi_u32 v12, v4, v8
	v_mul_hi_u32 v13, v7, v9
	v_mul_lo_u32 v9, v7, v9
	v_mul_hi_u32 v14, v7, v8
	v_mul_lo_u32 v8, v7, v8
	v_add_co_u32 v10, vcc_lo, v10, v11
	v_add_co_ci_u32_e32 v11, vcc_lo, 0, v12, vcc_lo
	v_add_co_u32 v9, vcc_lo, v10, v9
	v_add_co_ci_u32_e32 v9, vcc_lo, v11, v13, vcc_lo
	v_add_co_ci_u32_e32 v10, vcc_lo, 0, v14, vcc_lo
	v_add_co_u32 v8, vcc_lo, v9, v8
	v_add_co_ci_u32_e32 v9, vcc_lo, 0, v10, vcc_lo
	v_add_co_u32 v4, vcc_lo, v4, v8
	v_add_co_ci_u32_e32 v7, vcc_lo, v7, v9, vcc_lo
	v_mul_hi_u32 v8, s0, v4
	v_mul_lo_u32 v10, s20, v4
	v_mul_lo_u32 v9, s0, v7
	v_add_nc_u32_e32 v8, v8, v9
	v_mul_lo_u32 v9, s0, v4
	v_add_nc_u32_e32 v8, v8, v10
	v_mul_hi_u32 v10, v4, v9
	v_mul_lo_u32 v11, v4, v8
	v_mul_hi_u32 v12, v4, v8
	v_mul_hi_u32 v13, v7, v9
	v_mul_lo_u32 v9, v7, v9
	v_mul_hi_u32 v14, v7, v8
	v_mul_lo_u32 v8, v7, v8
	v_add_co_u32 v10, vcc_lo, v10, v11
	v_add_co_ci_u32_e32 v11, vcc_lo, 0, v12, vcc_lo
	v_add_co_u32 v9, vcc_lo, v10, v9
	v_add_co_ci_u32_e32 v9, vcc_lo, v11, v13, vcc_lo
	v_add_co_ci_u32_e32 v10, vcc_lo, 0, v14, vcc_lo
	v_add_co_u32 v8, vcc_lo, v9, v8
	v_add_co_ci_u32_e32 v9, vcc_lo, 0, v10, vcc_lo
	v_add_co_u32 v4, vcc_lo, v4, v8
	v_add_co_ci_u32_e32 v11, vcc_lo, v7, v9, vcc_lo
	v_mul_hi_u32 v13, v5, v4
	v_mad_u64_u32 v[9:10], null, v6, v4, 0
	v_mad_u64_u32 v[7:8], null, v5, v11, 0
	;; [unrolled: 1-line block ×3, first 2 shown]
	v_add_co_u32 v4, vcc_lo, v13, v7
	v_add_co_ci_u32_e32 v7, vcc_lo, 0, v8, vcc_lo
	v_add_co_u32 v4, vcc_lo, v4, v9
	v_add_co_ci_u32_e32 v4, vcc_lo, v7, v10, vcc_lo
	v_add_co_ci_u32_e32 v7, vcc_lo, 0, v12, vcc_lo
	v_add_co_u32 v4, vcc_lo, v4, v11
	v_add_co_ci_u32_e32 v9, vcc_lo, 0, v7, vcc_lo
	v_mul_lo_u32 v10, s19, v4
	v_mad_u64_u32 v[7:8], null, s18, v4, 0
	v_mul_lo_u32 v11, s18, v9
	v_sub_co_u32 v7, vcc_lo, v5, v7
	v_add3_u32 v8, v8, v11, v10
	v_sub_nc_u32_e32 v10, v6, v8
	v_subrev_co_ci_u32_e64 v10, s0, s19, v10, vcc_lo
	v_add_co_u32 v11, s0, v4, 2
	v_add_co_ci_u32_e64 v12, s0, 0, v9, s0
	v_sub_co_u32 v13, s0, v7, s18
	v_sub_co_ci_u32_e32 v8, vcc_lo, v6, v8, vcc_lo
	v_subrev_co_ci_u32_e64 v10, s0, 0, v10, s0
	v_cmp_le_u32_e32 vcc_lo, s18, v13
	v_cmp_eq_u32_e64 s0, s19, v8
	v_cndmask_b32_e64 v13, 0, -1, vcc_lo
	v_cmp_le_u32_e32 vcc_lo, s19, v10
	v_cndmask_b32_e64 v14, 0, -1, vcc_lo
	v_cmp_le_u32_e32 vcc_lo, s18, v7
	;; [unrolled: 2-line block ×3, first 2 shown]
	v_cndmask_b32_e64 v15, 0, -1, vcc_lo
	v_cmp_eq_u32_e32 vcc_lo, s19, v10
	v_cndmask_b32_e64 v7, v15, v7, s0
	v_cndmask_b32_e32 v10, v14, v13, vcc_lo
	v_add_co_u32 v13, vcc_lo, v4, 1
	v_add_co_ci_u32_e32 v14, vcc_lo, 0, v9, vcc_lo
	v_cmp_ne_u32_e32 vcc_lo, 0, v10
	v_cndmask_b32_e32 v8, v14, v12, vcc_lo
	v_cndmask_b32_e32 v10, v13, v11, vcc_lo
	v_cmp_ne_u32_e32 vcc_lo, 0, v7
	v_cndmask_b32_e32 v8, v9, v8, vcc_lo
	v_cndmask_b32_e32 v7, v4, v10, vcc_lo
.LBB0_4:                                ;   in Loop: Header=BB0_2 Depth=1
	s_andn2_saveexec_b32 s0, s1
	s_cbranch_execz .LBB0_6
; %bb.5:                                ;   in Loop: Header=BB0_2 Depth=1
	v_cvt_f32_u32_e32 v4, s18
	s_sub_i32 s1, 0, s18
	v_rcp_iflag_f32_e32 v4, v4
	v_mul_f32_e32 v4, 0x4f7ffffe, v4
	v_cvt_u32_f32_e32 v4, v4
	v_mul_lo_u32 v7, s1, v4
	v_mul_hi_u32 v7, v4, v7
	v_add_nc_u32_e32 v4, v4, v7
	v_mul_hi_u32 v4, v5, v4
	v_mul_lo_u32 v7, v4, s18
	v_add_nc_u32_e32 v8, 1, v4
	v_sub_nc_u32_e32 v7, v5, v7
	v_subrev_nc_u32_e32 v9, s18, v7
	v_cmp_le_u32_e32 vcc_lo, s18, v7
	v_cndmask_b32_e32 v7, v7, v9, vcc_lo
	v_cndmask_b32_e32 v4, v4, v8, vcc_lo
	v_cmp_le_u32_e32 vcc_lo, s18, v7
	v_add_nc_u32_e32 v8, 1, v4
	v_cndmask_b32_e32 v7, v4, v8, vcc_lo
	v_mov_b32_e32 v8, v3
.LBB0_6:                                ;   in Loop: Header=BB0_2 Depth=1
	s_or_b32 exec_lo, exec_lo, s0
	s_load_dwordx2 s[0:1], s[6:7], 0x0
	v_mul_lo_u32 v4, v8, s18
	v_mul_lo_u32 v11, v7, s19
	v_mad_u64_u32 v[9:10], null, v7, s18, 0
	s_add_u32 s16, s16, 1
	s_addc_u32 s17, s17, 0
	s_add_u32 s6, s6, 8
	s_addc_u32 s7, s7, 0
	;; [unrolled: 2-line block ×3, first 2 shown]
	v_add3_u32 v4, v10, v11, v4
	v_sub_co_u32 v5, vcc_lo, v5, v9
	v_sub_co_ci_u32_e32 v4, vcc_lo, v6, v4, vcc_lo
	s_waitcnt lgkmcnt(0)
	v_mul_lo_u32 v6, s1, v5
	v_mul_lo_u32 v4, s0, v4
	v_mad_u64_u32 v[1:2], null, s0, v5, v[1:2]
	v_cmp_ge_u64_e64 s0, s[16:17], s[10:11]
	s_and_b32 vcc_lo, exec_lo, s0
	v_add3_u32 v2, v6, v2, v4
	s_cbranch_vccnz .LBB0_9
; %bb.7:                                ;   in Loop: Header=BB0_2 Depth=1
	v_mov_b32_e32 v5, v7
	v_mov_b32_e32 v6, v8
	s_branch .LBB0_2
.LBB0_8:
	v_mov_b32_e32 v8, v6
	v_mov_b32_e32 v7, v5
.LBB0_9:
	s_lshl_b64 s[0:1], s[10:11], 3
	v_mul_hi_u32 v5, 0x51eb852, v0
	s_add_u32 s0, s12, s0
	s_addc_u32 s1, s13, s1
	s_load_dwordx2 s[0:1], s[0:1], 0x0
	s_load_dwordx2 s[4:5], s[4:5], 0x20
	s_waitcnt lgkmcnt(0)
	v_mul_lo_u32 v3, s0, v8
	v_mul_lo_u32 v4, s1, v7
	v_mad_u64_u32 v[1:2], null, s0, v7, v[1:2]
	v_cmp_gt_u64_e32 vcc_lo, s[4:5], v[7:8]
	v_add3_u32 v2, v4, v2, v3
	v_mul_u32_u24_e32 v4, 50, v5
	v_lshlrev_b64 v[2:3], 2, v[1:2]
	v_sub_nc_u32_e32 v0, v0, v4
	s_and_saveexec_b32 s1, vcc_lo
	s_cbranch_execz .LBB0_13
; %bb.10:
	v_mov_b32_e32 v1, 0
	v_add_co_u32 v4, s0, s2, v2
	v_add_co_ci_u32_e64 v5, s0, s3, v3, s0
	v_lshlrev_b64 v[6:7], 2, v[0:1]
	s_mov_b32 s4, exec_lo
	v_add_co_u32 v6, s0, v4, v6
	v_add_co_ci_u32_e64 v7, s0, v5, v7, s0
	s_clause 0x6
	global_load_dword v8, v[6:7], off
	global_load_dword v9, v[6:7], off offset:200
	global_load_dword v10, v[6:7], off offset:400
	;; [unrolled: 1-line block ×6, first 2 shown]
	v_lshl_add_u32 v7, v0, 2, 0
	s_waitcnt vmcnt(5)
	ds_write2_b32 v7, v8, v9 offset1:50
	s_waitcnt vmcnt(3)
	ds_write2_b32 v7, v10, v11 offset0:100 offset1:150
	s_waitcnt vmcnt(1)
	ds_write2_b32 v7, v12, v13 offset0:200 offset1:250
	s_waitcnt vmcnt(0)
	ds_write_b32 v7, v6 offset:1200
	v_cmpx_eq_u32_e32 49, v0
	s_cbranch_execz .LBB0_12
; %bb.11:
	global_load_dword v4, v[4:5], off offset:1400
	v_mov_b32_e32 v0, 49
	s_waitcnt vmcnt(0)
	ds_write_b32 v1, v4 offset:1400
.LBB0_12:
	s_or_b32 exec_lo, exec_lo, s4
.LBB0_13:
	s_or_b32 exec_lo, exec_lo, s1
	v_lshlrev_b32_e32 v1, 2, v0
	s_waitcnt lgkmcnt(0)
	s_barrier
	buffer_gl0_inv
	s_mov_b32 s1, exec_lo
	v_add_nc_u32_e32 v16, 0, v1
	v_sub_nc_u32_e32 v6, 0, v1
                                        ; implicit-def: $vgpr4_vgpr5
	ds_read_u16 v9, v16
	ds_read_u16 v10, v6 offset:1400
	s_waitcnt lgkmcnt(0)
	v_add_f16_e32 v8, v10, v9
	v_sub_f16_e32 v7, v9, v10
	v_cmpx_ne_u32_e32 0, v0
	s_xor_b32 s1, exec_lo, s1
	s_cbranch_execz .LBB0_15
; %bb.14:
	v_mov_b32_e32 v1, 0
	v_add_f16_e32 v8, v10, v9
	v_sub_f16_e32 v9, v9, v10
	v_lshlrev_b64 v[4:5], 2, v[0:1]
	v_add_co_u32 v4, s0, s8, v4
	v_add_co_ci_u32_e64 v5, s0, s9, v5, s0
	global_load_dword v4, v[4:5], off offset:1380
	ds_read_u16 v5, v6 offset:1402
	ds_read_u16 v7, v16 offset:2
	s_waitcnt lgkmcnt(0)
	v_add_f16_e32 v10, v5, v7
	v_sub_f16_e32 v5, v7, v5
	s_waitcnt vmcnt(0)
	v_lshrrev_b32_e32 v11, 16, v4
	v_fma_f16 v12, -v9, v11, v8
	v_fma_f16 v13, v10, v11, -v5
	v_fma_f16 v7, v10, v11, v5
	v_fma_f16 v8, v9, v11, v8
	v_fmac_f16_e32 v12, v4, v10
	v_fmac_f16_e32 v13, v9, v4
	;; [unrolled: 1-line block ×3, first 2 shown]
	v_fma_f16 v8, -v4, v10, v8
	v_mov_b32_e32 v5, v1
	v_mov_b32_e32 v4, v0
	v_pack_b32_f16 v9, v12, v13
	ds_write_b32 v6, v9 offset:1400
.LBB0_15:
	s_andn2_saveexec_b32 s0, s1
	s_cbranch_execz .LBB0_17
; %bb.16:
	v_mov_b32_e32 v1, 0
	ds_read_b32 v4, v1 offset:700
	s_waitcnt lgkmcnt(0)
	v_pk_mul_f16 v9, 0xc0004000, v4
	v_mov_b32_e32 v4, 0
	v_mov_b32_e32 v5, 0
	ds_write_b32 v1, v9 offset:700
.LBB0_17:
	s_or_b32 exec_lo, exec_lo, s0
	v_lshlrev_b64 v[4:5], 2, v[4:5]
	s_add_u32 s0, s8, 0x564
	s_addc_u32 s1, s9, 0
	v_perm_b32 v7, v7, v8, 0x5040100
	v_add_co_u32 v4, s0, s0, v4
	v_add_co_ci_u32_e64 v5, s0, s1, v5, s0
	s_mov_b32 s1, exec_lo
	s_clause 0x1
	global_load_dword v1, v[4:5], off offset:200
	global_load_dword v9, v[4:5], off offset:400
	ds_write_b32 v16, v7
	ds_read_b32 v7, v16 offset:200
	ds_read_b32 v8, v6 offset:1200
	s_waitcnt lgkmcnt(0)
	v_add_f16_e32 v10, v7, v8
	v_add_f16_sdwa v11, v8, v7 dst_sel:DWORD dst_unused:UNUSED_PAD src0_sel:WORD_1 src1_sel:WORD_1
	v_sub_f16_e32 v12, v7, v8
	v_sub_f16_sdwa v7, v7, v8 dst_sel:DWORD dst_unused:UNUSED_PAD src0_sel:WORD_1 src1_sel:WORD_1
	s_waitcnt vmcnt(1)
	v_lshrrev_b32_e32 v13, 16, v1
	v_fma_f16 v8, v12, v13, v10
	v_fma_f16 v14, v11, v13, v7
	v_fma_f16 v10, -v12, v13, v10
	v_fma_f16 v7, v11, v13, -v7
	v_fma_f16 v8, -v1, v11, v8
	v_fmac_f16_e32 v14, v12, v1
	v_fmac_f16_e32 v10, v1, v11
	;; [unrolled: 1-line block ×3, first 2 shown]
	v_pack_b32_f16 v1, v8, v14
	s_waitcnt vmcnt(0)
	v_lshrrev_b32_e32 v8, 16, v9
	v_pack_b32_f16 v7, v10, v7
	ds_write_b32 v16, v1 offset:200
	ds_write_b32 v6, v7 offset:1200
	ds_read_b32 v1, v16 offset:400
	ds_read_b32 v7, v6 offset:1000
	s_waitcnt lgkmcnt(0)
	v_add_f16_e32 v10, v1, v7
	v_add_f16_sdwa v11, v7, v1 dst_sel:DWORD dst_unused:UNUSED_PAD src0_sel:WORD_1 src1_sel:WORD_1
	v_sub_f16_e32 v12, v1, v7
	v_sub_f16_sdwa v1, v1, v7 dst_sel:DWORD dst_unused:UNUSED_PAD src0_sel:WORD_1 src1_sel:WORD_1
	v_fma_f16 v7, v12, v8, v10
	v_fma_f16 v13, v11, v8, v1
	v_fma_f16 v10, -v12, v8, v10
	v_fma_f16 v1, v11, v8, -v1
	v_fma_f16 v7, -v9, v11, v7
	v_fmac_f16_e32 v13, v12, v9
	v_fmac_f16_e32 v10, v9, v11
	;; [unrolled: 1-line block ×3, first 2 shown]
	v_pack_b32_f16 v7, v7, v13
	v_pack_b32_f16 v1, v10, v1
	ds_write_b32 v16, v7 offset:400
	ds_write_b32 v6, v1 offset:1000
	v_cmpx_gt_u32_e32 25, v0
	s_cbranch_execz .LBB0_19
; %bb.18:
	global_load_dword v1, v[4:5], off offset:600
	ds_read_b32 v4, v16 offset:600
	ds_read_b32 v5, v6 offset:800
	s_waitcnt lgkmcnt(0)
	v_add_f16_e32 v7, v4, v5
	v_add_f16_sdwa v8, v5, v4 dst_sel:DWORD dst_unused:UNUSED_PAD src0_sel:WORD_1 src1_sel:WORD_1
	v_sub_f16_e32 v9, v4, v5
	v_sub_f16_sdwa v4, v4, v5 dst_sel:DWORD dst_unused:UNUSED_PAD src0_sel:WORD_1 src1_sel:WORD_1
	s_waitcnt vmcnt(0)
	v_lshrrev_b32_e32 v10, 16, v1
	v_fma_f16 v5, v9, v10, v7
	v_fma_f16 v11, v8, v10, v4
	v_fma_f16 v7, -v9, v10, v7
	v_fma_f16 v4, v8, v10, -v4
	v_fma_f16 v5, -v1, v8, v5
	v_fmac_f16_e32 v11, v9, v1
	v_fmac_f16_e32 v7, v1, v8
	;; [unrolled: 1-line block ×3, first 2 shown]
	v_pack_b32_f16 v1, v5, v11
	v_pack_b32_f16 v4, v7, v4
	ds_write_b32 v16, v1 offset:600
	ds_write_b32 v6, v4 offset:800
.LBB0_19:
	s_or_b32 exec_lo, exec_lo, s1
	v_add_nc_u32_e32 v1, 0x400, v16
	v_add_nc_u32_e32 v4, 0x200, v16
	s_waitcnt lgkmcnt(0)
	s_barrier
	buffer_gl0_inv
	s_barrier
	buffer_gl0_inv
	ds_read2_b32 v[10:11], v16 offset0:70 offset1:120
	ds_read2_b32 v[8:9], v16 offset0:140 offset1:190
	ds_read2_b32 v[14:15], v16 offset1:50
	ds_read2_b32 v[6:7], v1 offset0:24 offset1:74
	ds_read2_b32 v[12:13], v4 offset0:82 offset1:132
	v_lshlrev_b32_e32 v1, 4, v0
	s_mov_b32 s1, exec_lo
	s_waitcnt lgkmcnt(0)
	s_barrier
	buffer_gl0_inv
	v_add_nc_u32_e32 v4, v16, v1
	v_pk_add_f16 v1, v9, v11 op_sel:[1,1] op_sel_hi:[0,0] neg_lo:[0,1] neg_hi:[0,1]
	v_pk_add_f16 v22, v9, v13 op_sel:[1,1] op_sel_hi:[0,0]
	v_pk_add_f16 v18, v11, v7 neg_lo:[0,1] neg_hi:[0,1]
	v_pk_add_f16 v20, v11, v7 op_sel:[1,1] op_sel_hi:[0,0]
	v_pk_add_f16 v21, v13, v7 op_sel:[1,1] op_sel_hi:[0,0] neg_lo:[0,1] neg_hi:[0,1]
	v_pk_add_f16 v5, v11, v9 op_sel:[1,1] op_sel_hi:[0,0] neg_lo:[0,1] neg_hi:[0,1]
	v_pk_fma_f16 v22, v22, 0.5, v15 op_sel:[0,0,1] op_sel_hi:[1,0,0] neg_lo:[1,0,0] neg_hi:[1,0,0]
	v_pk_add_f16 v17, v14, v10
	v_pk_add_f16 v19, v9, v13 neg_lo:[0,1] neg_hi:[0,1]
	v_pk_add_f16 v23, v7, v13 op_sel:[1,1] op_sel_hi:[0,0] neg_lo:[0,1] neg_hi:[0,1]
	v_pk_fma_f16 v27, v20, 0.5, v15 op_sel:[0,0,1] op_sel_hi:[1,0,0] neg_lo:[1,0,0] neg_hi:[1,0,0]
	v_pk_add_f16 v1, v1, v21
	v_pk_fma_f16 v21, 0x3b9c, v18, v22 op_sel_hi:[0,1,1]
	v_pk_fma_f16 v22, 0x3b9c, v18, v22 op_sel_hi:[0,1,1] neg_lo:[0,1,0] neg_hi:[0,1,0]
	v_pk_add_f16 v17, v17, v8
	v_pk_add_f16 v24, v8, v12
	v_pk_add_f16 v25, v10, v6 neg_lo:[0,1] neg_hi:[0,1]
	v_pk_add_f16 v20, v5, v23
	v_pk_fma_f16 v5, 0x3b9c, v19, v27 op_sel_hi:[0,1,1]
	v_pk_fma_f16 v23, 0x3b9c, v19, v27 op_sel_hi:[0,1,1] neg_lo:[0,1,0] neg_hi:[0,1,0]
	v_pk_fma_f16 v27, 0x38b4, v19, v21 op_sel_hi:[0,1,1]
	v_pk_fma_f16 v29, 0x38b4, v19, v22 op_sel_hi:[0,1,1] neg_lo:[0,1,0] neg_hi:[0,1,0]
	v_pk_add_f16 v26, v8, v12 neg_lo:[0,1] neg_hi:[0,1]
	v_pk_add_f16 v28, v10, v6
	v_pk_add_f16 v17, v17, v12
	v_pk_fma_f16 v24, v24, 0.5, v14 op_sel_hi:[1,0,1] neg_lo:[1,0,0] neg_hi:[1,0,0]
	v_pk_mul_f16 v30, 0x3b9c, v25 op_sel_hi:[0,1]
	v_bfi_b32 v27, 0xffff, v29, v27
	v_pk_mul_f16 v29, 0x38b4, v26 op_sel_hi:[0,1]
	v_pk_fma_f16 v14, v28, 0.5, v14 op_sel_hi:[1,0,1] neg_lo:[1,0,0] neg_hi:[1,0,0]
	v_pk_mul_f16 v26, 0x3b9c, v26 op_sel_hi:[0,1]
	v_pk_fma_f16 v5, 0x38b4, v18, v5 op_sel_hi:[0,1,1] neg_lo:[0,1,0] neg_hi:[0,1,0]
	v_pk_fma_f16 v23, 0x38b4, v18, v23 op_sel_hi:[0,1,1]
	v_pk_add_f16 v31, v17, v6
	v_pk_fma_f16 v17, 0x34f2, v20, v27 op_sel_hi:[0,1,1]
	v_pk_add_f16 v27, v24, v30 op_sel:[0,1] op_sel_hi:[1,0] neg_lo:[0,1] neg_hi:[0,1]
	v_pk_add_f16 v24, v24, v30 op_sel:[0,1] op_sel_hi:[1,0]
	v_pk_mul_f16 v25, 0x38b4, v25 op_sel_hi:[0,1]
	v_pk_add_f16 v30, v14, v26 op_sel:[0,1] op_sel_hi:[1,0]
	v_pk_add_f16 v14, v14, v26 op_sel:[0,1] op_sel_hi:[1,0] neg_lo:[0,1] neg_hi:[0,1]
	v_pk_fma_f16 v18, 0x34f2, v1, v5 op_sel_hi:[0,1,1]
	v_pk_fma_f16 v1, 0x34f2, v1, v23 op_sel_hi:[0,1,1]
	v_pk_add_f16 v23, v10, v8 neg_lo:[0,1] neg_hi:[0,1]
	v_pk_add_f16 v28, v6, v12 neg_lo:[0,1] neg_hi:[0,1]
	v_pk_add_f16 v27, v27, v29 op_sel:[0,1] op_sel_hi:[1,0] neg_lo:[0,1] neg_hi:[0,1]
	v_pk_add_f16 v24, v24, v29 op_sel:[0,1] op_sel_hi:[1,0]
	v_pk_add_f16 v8, v8, v10 neg_lo:[0,1] neg_hi:[0,1]
	v_pk_add_f16 v6, v12, v6 neg_lo:[0,1] neg_hi:[0,1]
	v_pk_add_f16 v10, v30, v25 op_sel:[0,1] op_sel_hi:[1,0] neg_lo:[0,1] neg_hi:[0,1]
	v_pk_add_f16 v12, v14, v25 op_sel:[0,1] op_sel_hi:[1,0]
	v_pk_add_f16 v14, v23, v28
	v_bfi_b32 v23, 0xffff, v27, v24
	v_pk_add_f16 v6, v8, v6
	v_lshrrev_b32_e32 v5, 16, v18
	v_bfi_b32 v8, 0xffff, v10, v12
	v_bfi_b32 v10, 0xffff, v12, v10
	;; [unrolled: 1-line block ×3, first 2 shown]
	v_pk_fma_f16 v23, 0x34f2, v14, v23 op_sel_hi:[0,1,1]
	v_pk_fma_f16 v8, 0x34f2, v6, v8 op_sel_hi:[0,1,1]
	;; [unrolled: 1-line block ×4, first 2 shown]
	ds_write2_b32 v4, v31, v23 offset1:1
	ds_write2_b32 v4, v8, v6 offset0:2 offset1:3
	ds_write_b32 v4, v10 offset:16
	v_cmpx_gt_u32_e32 20, v0
	s_cbranch_execz .LBB0_21
; %bb.20:
	v_pk_mul_f16 v6, 0x38b4, v19 op_sel_hi:[0,1]
	v_pk_add_f16 v8, v15, v11
	v_pk_mul_f16 v11, 0x34f2, v20 op_sel_hi:[0,1]
	v_pk_add_f16 v10, v22, v6 neg_lo:[0,1] neg_hi:[0,1]
	v_pk_add_f16 v6, v21, v6
	v_pk_add_f16 v8, v8, v9
	v_perm_b32 v9, v1, v5, 0x5040100
	v_bfi_b32 v6, 0xffff, v6, v10
	v_pk_add_f16 v8, v8, v13
	v_alignbit_b32 v10, v18, v1, 16
	v_pk_add_f16 v6, v11, v6
	v_pk_add_f16 v7, v8, v7
	v_alignbit_b32 v8, v17, v17, 16
	v_alignbit_b32 v6, v6, v6, 16
	ds_write2_b32 v4, v9, v10 offset0:252 offset1:253
	ds_write2_b32 v4, v7, v6 offset0:250 offset1:251
	ds_write_b32 v4, v8 offset:1016
.LBB0_21:
	s_or_b32 exec_lo, exec_lo, s1
	v_and_b32_e32 v4, 0xff, v0
	v_mov_b32_e32 v7, 6
	s_waitcnt lgkmcnt(0)
	s_barrier
	buffer_gl0_inv
	v_mul_lo_u16 v4, 0xcd, v4
	v_mov_b32_e32 v25, 0x8c
	v_mov_b32_e32 v26, 2
	v_cmp_gt_u32_e64 s0, 35, v0
	v_lshrrev_b16 v4, 10, v4
	v_mul_lo_u16 v6, v4, 5
	v_mul_u32_u24_sdwa v4, v4, v25 dst_sel:DWORD dst_unused:UNUSED_PAD src0_sel:WORD_0 src1_sel:DWORD
	v_sub_nc_u16 v23, v0, v6
	v_mul_u32_u24_sdwa v6, v23, v7 dst_sel:DWORD dst_unused:UNUSED_PAD src0_sel:BYTE_0 src1_sel:DWORD
	v_lshlrev_b32_sdwa v23, v26, v23 dst_sel:DWORD dst_unused:UNUSED_PAD src0_sel:DWORD src1_sel:BYTE_0
	v_lshrrev_b32_e32 v7, 16, v17
	v_lshlrev_b32_e32 v6, 2, v6
	v_add3_u32 v31, 0, v4, v23
	s_clause 0x1
	global_load_dwordx4 v[8:11], v6, s[8:9]
	global_load_dwordx2 v[12:13], v6, s[8:9] offset:16
	ds_read2_b32 v[14:15], v16 offset1:50
	ds_read2_b32 v[19:20], v16 offset0:100 offset1:150
	ds_read2_b32 v[21:22], v16 offset0:200 offset1:250
	ds_read_b32 v24, v16 offset:1200
	v_lshrrev_b32_e32 v6, 16, v1
	s_waitcnt vmcnt(0) lgkmcnt(0)
	s_barrier
	buffer_gl0_inv
	v_lshrrev_b32_e32 v25, 16, v15
	v_lshrrev_b32_e32 v27, 16, v19
	;; [unrolled: 1-line block ×6, first 2 shown]
	v_mul_f16_sdwa v4, v8, v25 dst_sel:DWORD dst_unused:UNUSED_PAD src0_sel:WORD_1 src1_sel:DWORD
	v_mul_f16_sdwa v23, v8, v15 dst_sel:DWORD dst_unused:UNUSED_PAD src0_sel:WORD_1 src1_sel:DWORD
	;; [unrolled: 1-line block ×12, first 2 shown]
	v_fmac_f16_e32 v4, v8, v15
	v_fma_f16 v8, v8, v25, -v23
	v_fmac_f16_e32 v32, v9, v19
	v_fma_f16 v9, v9, v27, -v33
	;; [unrolled: 2-line block ×6, first 2 shown]
	v_add_f16_e32 v15, v4, v40
	v_add_f16_e32 v19, v8, v13
	v_sub_f16_e32 v8, v8, v13
	v_add_f16_e32 v13, v32, v38
	v_add_f16_e32 v20, v9, v12
	v_sub_f16_e32 v4, v4, v40
	v_sub_f16_e32 v21, v32, v38
	;; [unrolled: 1-line block ×3, first 2 shown]
	v_add_f16_e32 v12, v34, v36
	v_add_f16_e32 v22, v10, v11
	v_sub_f16_e32 v23, v36, v34
	v_sub_f16_e32 v10, v11, v10
	v_add_f16_e32 v11, v13, v15
	v_add_f16_e32 v24, v20, v19
	v_sub_f16_e32 v25, v13, v15
	v_sub_f16_e32 v26, v20, v19
	v_sub_f16_e32 v15, v15, v12
	v_sub_f16_e32 v19, v19, v22
	v_sub_f16_e32 v13, v12, v13
	v_sub_f16_e32 v20, v22, v20
	v_add_f16_e32 v27, v23, v21
	v_add_f16_e32 v28, v10, v9
	v_sub_f16_e32 v29, v23, v21
	v_sub_f16_e32 v30, v10, v9
	;; [unrolled: 1-line block ×4, first 2 shown]
	v_add_f16_e32 v11, v12, v11
	v_add_f16_e32 v12, v22, v24
	v_sub_f16_e32 v23, v4, v23
	v_sub_f16_e32 v10, v8, v10
	v_add_f16_e32 v4, v27, v4
	v_add_f16_e32 v22, v28, v8
	v_mul_f16_e32 v15, 0x3a52, v15
	v_mul_f16_e32 v19, 0x3a52, v19
	v_mul_f16_e32 v24, 0x2b26, v13
	v_mul_f16_e32 v27, 0x2b26, v20
	v_mul_f16_e32 v28, 0x3846, v29
	v_mul_f16_e32 v29, 0x3846, v30
	v_mul_f16_e32 v30, 0xbb00, v21
	v_mul_f16_e32 v32, 0xbb00, v9
	v_add_f16_e32 v8, v11, v14
	v_add_f16_sdwa v14, v12, v14 dst_sel:DWORD dst_unused:UNUSED_PAD src0_sel:DWORD src1_sel:WORD_1
	v_fmamk_f16 v13, v13, 0x2b26, v15
	v_fmamk_f16 v20, v20, 0x2b26, v19
	v_fma_f16 v24, v25, 0x39e0, -v24
	v_fma_f16 v27, v26, 0x39e0, -v27
	;; [unrolled: 1-line block ×4, first 2 shown]
	v_fmamk_f16 v25, v23, 0xb574, v28
	v_fmamk_f16 v26, v10, 0xb574, v29
	v_fma_f16 v28, v21, 0xbb00, -v28
	v_fma_f16 v29, v9, 0xbb00, -v29
	v_fma_f16 v23, v23, 0x3574, -v30
	v_fma_f16 v30, v10, 0x3574, -v32
	v_fmamk_f16 v9, v11, 0xbcab, v8
	v_fmamk_f16 v10, v12, 0xbcab, v14
	v_fmac_f16_e32 v25, 0xb70e, v4
	v_fmac_f16_e32 v26, 0xb70e, v22
	;; [unrolled: 1-line block ×4, first 2 shown]
	v_add_f16_e32 v4, v13, v9
	v_add_f16_e32 v33, v20, v10
	v_fmac_f16_e32 v29, 0xb70e, v22
	v_fmac_f16_e32 v30, 0xb70e, v22
	v_add_f16_e32 v12, v24, v9
	v_add_f16_e32 v13, v15, v9
	;; [unrolled: 1-line block ×5, first 2 shown]
	v_sub_f16_e32 v15, v33, v25
	v_add_f16_e32 v10, v30, v13
	v_sub_f16_e32 v21, v20, v23
	v_sub_f16_e32 v11, v12, v29
	v_add_f16_e32 v19, v28, v22
	v_add_f16_e32 v12, v29, v12
	v_sub_f16_e32 v22, v22, v28
	v_sub_f16_e32 v13, v13, v30
	v_add_f16_e32 v20, v23, v20
	v_sub_f16_e32 v4, v4, v26
	v_add_f16_e32 v23, v25, v33
	v_pack_b32_f16 v32, v8, v14
	v_pack_b32_f16 v24, v9, v15
	;; [unrolled: 1-line block ×7, first 2 shown]
	ds_write2_b32 v31, v32, v24 offset1:5
	ds_write2_b32 v31, v25, v26 offset0:10 offset1:15
	ds_write2_b32 v31, v27, v28 offset0:20 offset1:25
	ds_write_b32 v31, v29 offset:120
	s_waitcnt lgkmcnt(0)
	s_barrier
	buffer_gl0_inv
	s_and_saveexec_b32 s1, s0
	s_cbranch_execz .LBB0_23
; %bb.22:
	v_add_nc_u32_e32 v1, 0x400, v16
	ds_read2_b32 v[8:9], v16 offset1:35
	ds_read2_b32 v[10:11], v16 offset0:70 offset1:105
	ds_read2_b32 v[12:13], v16 offset0:140 offset1:175
	;; [unrolled: 1-line block ×4, first 2 shown]
	s_waitcnt lgkmcnt(4)
	v_lshrrev_b32_e32 v14, 16, v8
	v_lshrrev_b32_e32 v15, 16, v9
	s_waitcnt lgkmcnt(3)
	v_lshrrev_b32_e32 v21, 16, v10
	v_lshrrev_b32_e32 v19, 16, v11
	;; [unrolled: 3-line block ×3, first 2 shown]
	s_waitcnt lgkmcnt(1)
	v_lshrrev_b32_e32 v23, 16, v4
	s_waitcnt lgkmcnt(0)
	v_lshrrev_b32_e32 v18, 16, v6
	v_lshrrev_b32_e32 v17, 16, v7
	v_lshrrev_b32_e32 v1, 16, v5
.LBB0_23:
	s_or_b32 exec_lo, exec_lo, s1
	s_barrier
	buffer_gl0_inv
	s_and_saveexec_b32 s1, s0
	s_cbranch_execz .LBB0_25
; %bb.24:
	v_subrev_nc_u32_e32 v24, 35, v0
	v_mov_b32_e32 v25, 0
	v_cndmask_b32_e64 v24, v24, v0, s0
	v_mul_i32_i24_e32 v24, 9, v24
	v_lshlrev_b64 v[24:25], 2, v[24:25]
	v_add_co_u32 v32, s0, s8, v24
	v_add_co_ci_u32_e64 v33, s0, s9, v25, s0
	s_clause 0x2
	global_load_dwordx4 v[24:27], v[32:33], off offset:120
	global_load_dwordx4 v[28:31], v[32:33], off offset:136
	global_load_dword v32, v[32:33], off offset:152
	v_add_nc_u32_e32 v33, 0x400, v16
	s_waitcnt vmcnt(2)
	v_mul_f16_sdwa v34, v10, v25 dst_sel:DWORD dst_unused:UNUSED_PAD src0_sel:DWORD src1_sel:WORD_1
	v_mul_f16_sdwa v35, v12, v27 dst_sel:DWORD dst_unused:UNUSED_PAD src0_sel:DWORD src1_sel:WORD_1
	s_waitcnt vmcnt(1)
	v_mul_f16_sdwa v36, v6, v31 dst_sel:DWORD dst_unused:UNUSED_PAD src0_sel:DWORD src1_sel:WORD_1
	v_mul_f16_sdwa v37, v4, v29 dst_sel:DWORD dst_unused:UNUSED_PAD src0_sel:DWORD src1_sel:WORD_1
	;; [unrolled: 1-line block ×6, first 2 shown]
	s_waitcnt vmcnt(0)
	v_mul_f16_sdwa v44, v17, v32 dst_sel:DWORD dst_unused:UNUSED_PAD src0_sel:DWORD src1_sel:WORD_1
	v_mul_f16_sdwa v45, v1, v30 dst_sel:DWORD dst_unused:UNUSED_PAD src0_sel:DWORD src1_sel:WORD_1
	;; [unrolled: 1-line block ×10, first 2 shown]
	v_fma_f16 v21, v21, v25, -v34
	v_fma_f16 v22, v22, v27, -v35
	;; [unrolled: 1-line block ×4, first 2 shown]
	v_fmac_f16_e32 v39, v6, v31
	v_fmac_f16_e32 v41, v4, v29
	;; [unrolled: 1-line block ×6, first 2 shown]
	v_fma_f16 v4, v19, v26, -v47
	v_fma_f16 v5, v17, v32, -v48
	;; [unrolled: 1-line block ×4, first 2 shown]
	v_fmac_f16_e32 v38, v10, v25
	v_fmac_f16_e32 v40, v12, v27
	;; [unrolled: 1-line block ×3, first 2 shown]
	v_fma_f16 v7, v15, v24, -v51
	v_sub_f16_e32 v9, v21, v22
	v_sub_f16_e32 v10, v18, v23
	v_add_f16_e32 v11, v22, v23
	v_sub_f16_e32 v15, v42, v43
	v_sub_f16_e32 v17, v44, v45
	v_add_f16_e32 v19, v43, v45
	v_add_f16_e32 v27, v6, v1
	;; [unrolled: 1-line block ×3, first 2 shown]
	v_sub_f16_e32 v12, v38, v39
	v_sub_f16_e32 v20, v4, v5
	v_sub_f16_e32 v25, v4, v6
	v_sub_f16_e32 v26, v5, v1
	v_sub_f16_e32 v28, v42, v44
	v_sub_f16_e32 v29, v43, v45
	v_sub_f16_e32 v30, v22, v21
	v_sub_f16_e32 v31, v23, v18
	v_sub_f16_e32 v34, v43, v42
	v_sub_f16_e32 v35, v45, v44
	v_add_f16_e32 v36, v42, v44
	v_sub_f16_e32 v37, v6, v4
	v_add_f16_e32 v4, v7, v4
	v_sub_f16_e32 v50, v38, v40
	;; [unrolled: 2-line block ×3, first 2 shown]
	v_add_f16_e32 v56, v38, v39
	v_add_f16_e32 v38, v8, v38
	;; [unrolled: 1-line block ×4, first 2 shown]
	v_fma_f16 v10, -0.5, v11, v14
	v_add_f16_e32 v11, v15, v17
	v_fma_f16 v15, -0.5, v19, v46
	v_fma_f16 v19, -0.5, v27, v7
	;; [unrolled: 1-line block ×3, first 2 shown]
	v_add_f16_e32 v32, v21, v18
	v_add_f16_e32 v49, v14, v21
	v_sub_f16_e32 v24, v6, v1
	v_sub_f16_e32 v47, v1, v5
	;; [unrolled: 1-line block ×3, first 2 shown]
	v_add_f16_e32 v17, v25, v26
	v_add_f16_e32 v25, v30, v31
	;; [unrolled: 1-line block ×3, first 2 shown]
	v_fma_f16 v27, -0.5, v36, v46
	v_add_f16_e32 v4, v4, v6
	v_fma_f16 v31, -0.5, v52, v8
	v_add_f16_e32 v34, v38, v40
	v_add_f16_e32 v35, v42, v43
	v_fmamk_f16 v38, v28, 0xbb9c, v19
	v_fmamk_f16 v43, v29, 0x3b9c, v7
	v_fmac_f16_e32 v7, 0xbb9c, v29
	v_fmac_f16_e32 v19, 0x3b9c, v28
	v_sub_f16_e32 v13, v40, v41
	v_sub_f16_e32 v53, v22, v23
	v_fma_f16 v14, -0.5, v32, v14
	v_add_f16_e32 v22, v49, v22
	v_sub_f16_e32 v51, v39, v41
	v_add_f16_e32 v30, v37, v47
	v_fmamk_f16 v36, v12, 0xbb9c, v10
	v_fmamk_f16 v37, v20, 0x3b9c, v15
	;; [unrolled: 1-line block ×3, first 2 shown]
	v_fmac_f16_e32 v27, 0x3b9c, v24
	v_fmac_f16_e32 v10, 0x3b9c, v12
	;; [unrolled: 1-line block ×3, first 2 shown]
	v_add_f16_e32 v1, v4, v1
	v_fmamk_f16 v4, v21, 0x3b9c, v31
	v_fmac_f16_e32 v31, 0xbb9c, v21
	v_add_f16_e32 v34, v34, v41
	v_add_f16_e32 v35, v35, v45
	v_fmac_f16_e32 v7, 0x38b4, v28
	v_fmac_f16_e32 v19, 0x38b4, v29
	v_fma_f16 v8, -0.5, v56, v8
	v_fmamk_f16 v40, v13, 0x3b9c, v14
	v_fmac_f16_e32 v14, 0xbb9c, v13
	v_add_f16_e32 v22, v22, v23
	v_fmac_f16_e32 v43, 0xb8b4, v28
	v_fmac_f16_e32 v38, 0xb8b4, v29
	v_add_f16_e32 v6, v50, v51
	v_fmac_f16_e32 v36, 0xb8b4, v13
	v_fmac_f16_e32 v27, 0xb8b4, v20
	;; [unrolled: 1-line block ×4, first 2 shown]
	v_add_f16_e32 v1, v1, v5
	v_fmac_f16_e32 v4, 0x38b4, v53
	v_fmac_f16_e32 v31, 0xb8b4, v53
	v_add_f16_e32 v5, v34, v39
	v_add_f16_e32 v13, v35, v44
	v_fmac_f16_e32 v7, 0x34f2, v30
	v_fmac_f16_e32 v19, 0x34f2, v17
	v_sub_f16_e32 v55, v41, v39
	v_fmamk_f16 v23, v53, 0xbb9c, v8
	v_fmac_f16_e32 v8, 0x3b9c, v53
	v_fmac_f16_e32 v40, 0xb8b4, v12
	;; [unrolled: 1-line block ×4, first 2 shown]
	v_add_f16_e32 v12, v22, v18
	v_fmac_f16_e32 v43, 0x34f2, v30
	v_fmac_f16_e32 v37, 0x38b4, v24
	;; [unrolled: 1-line block ×7, first 2 shown]
	v_sub_f16_e32 v6, v5, v13
	v_add_f16_e32 v5, v5, v13
	v_mul_f16_e32 v13, 0x34f2, v7
	v_mul_f16_e32 v17, 0x3a79, v19
	;; [unrolled: 1-line block ×3, first 2 shown]
	v_add_f16_e32 v32, v54, v55
	v_fmac_f16_e32 v23, 0x38b4, v21
	v_fmac_f16_e32 v8, 0xb8b4, v21
	v_fmac_f16_e32 v36, 0x34f2, v9
	v_fmac_f16_e32 v42, 0x34f2, v26
	v_fmac_f16_e32 v10, 0x34f2, v9
	v_sub_f16_e32 v9, v12, v1
	v_add_f16_e32 v1, v12, v1
	v_mul_f16_e32 v12, 0xb4f2, v43
	v_mul_f16_e32 v20, 0xbb9c, v43
	;; [unrolled: 1-line block ×3, first 2 shown]
	v_fmac_f16_e32 v37, 0x34f2, v11
	v_mul_f16_e32 v11, 0xba79, v38
	v_mul_f16_e32 v18, 0xb8b4, v38
	v_fmac_f16_e32 v14, 0x34f2, v25
	v_fmac_f16_e32 v13, 0x3b9c, v27
	;; [unrolled: 1-line block ×12, first 2 shown]
	v_sub_f16_e32 v15, v14, v13
	v_sub_f16_e32 v21, v10, v17
	v_add_f16_e32 v13, v14, v13
	v_add_f16_e32 v10, v10, v17
	;; [unrolled: 1-line block ×3, first 2 shown]
	v_pack_b32_f16 v1, v5, v1
	v_pack_b32_f16 v5, v6, v9
	v_sub_f16_e32 v9, v40, v12
	v_sub_f16_e32 v25, v8, v7
	v_add_f16_e32 v12, v40, v12
	v_add_f16_e32 v7, v8, v7
	;; [unrolled: 1-line block ×3, first 2 shown]
	v_sub_f16_e32 v6, v36, v11
	v_sub_f16_e32 v22, v4, v18
	v_add_f16_e32 v11, v36, v11
	v_add_f16_e32 v4, v4, v18
	v_sub_f16_e32 v17, v31, v19
	v_sub_f16_e32 v24, v23, v20
	v_pack_b32_f16 v10, v14, v10
	v_pack_b32_f16 v7, v7, v13
	;; [unrolled: 1-line block ×8, first 2 shown]
	ds_write2_b32 v16, v1, v10 offset1:35
	ds_write2_b32 v16, v7, v8 offset0:70 offset1:105
	ds_write2_b32 v16, v4, v5 offset0:140 offset1:175
	;; [unrolled: 1-line block ×4, first 2 shown]
.LBB0_25:
	s_or_b32 exec_lo, exec_lo, s1
	s_waitcnt lgkmcnt(0)
	s_barrier
	buffer_gl0_inv
	s_and_saveexec_b32 s0, vcc_lo
	s_cbranch_execz .LBB0_27
; %bb.26:
	v_lshl_add_u32 v14, v0, 2, 0
	v_mov_b32_e32 v1, 0
	v_add_nc_u32_e32 v4, 50, v0
	v_add_co_u32 v15, vcc_lo, s2, v2
	ds_read2_b32 v[6:7], v14 offset1:50
	v_mov_b32_e32 v5, v1
	v_lshlrev_b64 v[8:9], 2, v[0:1]
	v_add_co_ci_u32_e32 v16, vcc_lo, s3, v3, vcc_lo
	v_add_nc_u32_e32 v2, 0x64, v0
	v_lshlrev_b64 v[4:5], 2, v[4:5]
	v_mov_b32_e32 v3, v1
	v_add_co_u32 v8, vcc_lo, v15, v8
	v_add_co_ci_u32_e32 v9, vcc_lo, v16, v9, vcc_lo
	v_add_co_u32 v4, vcc_lo, v15, v4
	v_add_co_ci_u32_e32 v5, vcc_lo, v16, v5, vcc_lo
	v_add_nc_u32_e32 v10, 0x96, v0
	v_mov_b32_e32 v11, v1
	v_lshlrev_b64 v[2:3], 2, v[2:3]
	ds_read2_b32 v[12:13], v14 offset0:100 offset1:150
	s_waitcnt lgkmcnt(1)
	global_store_dword v[8:9], v6, off
	global_store_dword v[4:5], v7, off
	v_add_nc_u32_e32 v4, 0xc8, v0
	v_mov_b32_e32 v5, v1
	v_lshlrev_b64 v[6:7], 2, v[10:11]
	ds_read2_b32 v[8:9], v14 offset0:200 offset1:250
	v_add_nc_u32_e32 v10, 0xfa, v0
	ds_read_b32 v14, v14 offset:1200
	v_add_co_u32 v2, vcc_lo, v15, v2
	v_lshlrev_b64 v[4:5], 2, v[4:5]
	v_add_nc_u32_e32 v0, 0x12c, v0
	v_add_co_ci_u32_e32 v3, vcc_lo, v16, v3, vcc_lo
	v_add_co_u32 v6, vcc_lo, v15, v6
	v_lshlrev_b64 v[10:11], 2, v[10:11]
	v_add_co_ci_u32_e32 v7, vcc_lo, v16, v7, vcc_lo
	v_add_co_u32 v4, vcc_lo, v15, v4
	v_lshlrev_b64 v[0:1], 2, v[0:1]
	v_add_co_ci_u32_e32 v5, vcc_lo, v16, v5, vcc_lo
	v_add_co_u32 v10, vcc_lo, v15, v10
	v_add_co_ci_u32_e32 v11, vcc_lo, v16, v11, vcc_lo
	v_add_co_u32 v0, vcc_lo, v15, v0
	v_add_co_ci_u32_e32 v1, vcc_lo, v16, v1, vcc_lo
	s_waitcnt lgkmcnt(2)
	global_store_dword v[2:3], v12, off
	global_store_dword v[6:7], v13, off
	s_waitcnt lgkmcnt(1)
	global_store_dword v[4:5], v8, off
	global_store_dword v[10:11], v9, off
	s_waitcnt lgkmcnt(0)
	global_store_dword v[0:1], v14, off
.LBB0_27:
	s_endpgm
	.section	.rodata,"a",@progbits
	.p2align	6, 0x0
	.amdhsa_kernel fft_rtc_back_len350_factors_5_7_10_wgs_50_tpt_50_half_ip_CI_unitstride_sbrr_C2R_dirReg
		.amdhsa_group_segment_fixed_size 0
		.amdhsa_private_segment_fixed_size 0
		.amdhsa_kernarg_size 88
		.amdhsa_user_sgpr_count 6
		.amdhsa_user_sgpr_private_segment_buffer 1
		.amdhsa_user_sgpr_dispatch_ptr 0
		.amdhsa_user_sgpr_queue_ptr 0
		.amdhsa_user_sgpr_kernarg_segment_ptr 1
		.amdhsa_user_sgpr_dispatch_id 0
		.amdhsa_user_sgpr_flat_scratch_init 0
		.amdhsa_user_sgpr_private_segment_size 0
		.amdhsa_wavefront_size32 1
		.amdhsa_uses_dynamic_stack 0
		.amdhsa_system_sgpr_private_segment_wavefront_offset 0
		.amdhsa_system_sgpr_workgroup_id_x 1
		.amdhsa_system_sgpr_workgroup_id_y 0
		.amdhsa_system_sgpr_workgroup_id_z 0
		.amdhsa_system_sgpr_workgroup_info 0
		.amdhsa_system_vgpr_workitem_id 0
		.amdhsa_next_free_vgpr 57
		.amdhsa_next_free_sgpr 21
		.amdhsa_reserve_vcc 1
		.amdhsa_reserve_flat_scratch 0
		.amdhsa_float_round_mode_32 0
		.amdhsa_float_round_mode_16_64 0
		.amdhsa_float_denorm_mode_32 3
		.amdhsa_float_denorm_mode_16_64 3
		.amdhsa_dx10_clamp 1
		.amdhsa_ieee_mode 1
		.amdhsa_fp16_overflow 0
		.amdhsa_workgroup_processor_mode 1
		.amdhsa_memory_ordered 1
		.amdhsa_forward_progress 0
		.amdhsa_shared_vgpr_count 0
		.amdhsa_exception_fp_ieee_invalid_op 0
		.amdhsa_exception_fp_denorm_src 0
		.amdhsa_exception_fp_ieee_div_zero 0
		.amdhsa_exception_fp_ieee_overflow 0
		.amdhsa_exception_fp_ieee_underflow 0
		.amdhsa_exception_fp_ieee_inexact 0
		.amdhsa_exception_int_div_zero 0
	.end_amdhsa_kernel
	.text
.Lfunc_end0:
	.size	fft_rtc_back_len350_factors_5_7_10_wgs_50_tpt_50_half_ip_CI_unitstride_sbrr_C2R_dirReg, .Lfunc_end0-fft_rtc_back_len350_factors_5_7_10_wgs_50_tpt_50_half_ip_CI_unitstride_sbrr_C2R_dirReg
                                        ; -- End function
	.section	.AMDGPU.csdata,"",@progbits
; Kernel info:
; codeLenInByte = 5824
; NumSgprs: 23
; NumVgprs: 57
; ScratchSize: 0
; MemoryBound: 0
; FloatMode: 240
; IeeeMode: 1
; LDSByteSize: 0 bytes/workgroup (compile time only)
; SGPRBlocks: 2
; VGPRBlocks: 7
; NumSGPRsForWavesPerEU: 23
; NumVGPRsForWavesPerEU: 57
; Occupancy: 16
; WaveLimiterHint : 1
; COMPUTE_PGM_RSRC2:SCRATCH_EN: 0
; COMPUTE_PGM_RSRC2:USER_SGPR: 6
; COMPUTE_PGM_RSRC2:TRAP_HANDLER: 0
; COMPUTE_PGM_RSRC2:TGID_X_EN: 1
; COMPUTE_PGM_RSRC2:TGID_Y_EN: 0
; COMPUTE_PGM_RSRC2:TGID_Z_EN: 0
; COMPUTE_PGM_RSRC2:TIDIG_COMP_CNT: 0
	.text
	.p2alignl 6, 3214868480
	.fill 48, 4, 3214868480
	.type	__hip_cuid_ce4e80a0ea2b81d2,@object ; @__hip_cuid_ce4e80a0ea2b81d2
	.section	.bss,"aw",@nobits
	.globl	__hip_cuid_ce4e80a0ea2b81d2
__hip_cuid_ce4e80a0ea2b81d2:
	.byte	0                               ; 0x0
	.size	__hip_cuid_ce4e80a0ea2b81d2, 1

	.ident	"AMD clang version 19.0.0git (https://github.com/RadeonOpenCompute/llvm-project roc-6.4.0 25133 c7fe45cf4b819c5991fe208aaa96edf142730f1d)"
	.section	".note.GNU-stack","",@progbits
	.addrsig
	.addrsig_sym __hip_cuid_ce4e80a0ea2b81d2
	.amdgpu_metadata
---
amdhsa.kernels:
  - .args:
      - .actual_access:  read_only
        .address_space:  global
        .offset:         0
        .size:           8
        .value_kind:     global_buffer
      - .offset:         8
        .size:           8
        .value_kind:     by_value
      - .actual_access:  read_only
        .address_space:  global
        .offset:         16
        .size:           8
        .value_kind:     global_buffer
      - .actual_access:  read_only
        .address_space:  global
        .offset:         24
        .size:           8
        .value_kind:     global_buffer
      - .offset:         32
        .size:           8
        .value_kind:     by_value
      - .actual_access:  read_only
        .address_space:  global
        .offset:         40
        .size:           8
        .value_kind:     global_buffer
      - .actual_access:  read_only
        .address_space:  global
        .offset:         48
        .size:           8
        .value_kind:     global_buffer
      - .offset:         56
        .size:           4
        .value_kind:     by_value
      - .actual_access:  read_only
        .address_space:  global
        .offset:         64
        .size:           8
        .value_kind:     global_buffer
      - .actual_access:  read_only
        .address_space:  global
        .offset:         72
        .size:           8
        .value_kind:     global_buffer
      - .address_space:  global
        .offset:         80
        .size:           8
        .value_kind:     global_buffer
    .group_segment_fixed_size: 0
    .kernarg_segment_align: 8
    .kernarg_segment_size: 88
    .language:       OpenCL C
    .language_version:
      - 2
      - 0
    .max_flat_workgroup_size: 50
    .name:           fft_rtc_back_len350_factors_5_7_10_wgs_50_tpt_50_half_ip_CI_unitstride_sbrr_C2R_dirReg
    .private_segment_fixed_size: 0
    .sgpr_count:     23
    .sgpr_spill_count: 0
    .symbol:         fft_rtc_back_len350_factors_5_7_10_wgs_50_tpt_50_half_ip_CI_unitstride_sbrr_C2R_dirReg.kd
    .uniform_work_group_size: 1
    .uses_dynamic_stack: false
    .vgpr_count:     57
    .vgpr_spill_count: 0
    .wavefront_size: 32
    .workgroup_processor_mode: 1
amdhsa.target:   amdgcn-amd-amdhsa--gfx1030
amdhsa.version:
  - 1
  - 2
...

	.end_amdgpu_metadata
